;; amdgpu-corpus repo=llvm/llvm-project kind=harvested arch=n/a opt=n/a
// NOTE: Assertions have been autogenerated by utils/update_mc_test_checks.py UTC_ARGS: --version 6
// RUN: llvm-mc -triple=amdgcn -mcpu=gfx1310 -show-encoding %s | FileCheck -check-prefixes=GFX13 %s
// RUN: llvm-mc -triple=amdgcn -mcpu=gfx1310 -show-encoding %s | %extract-encodings | llvm-mc -triple=amdgcn -mcpu=gfx1310 -disassemble -show-encoding | FileCheck -check-prefixes=GFX13 %s

s_addk_i32 s0, 0x0
// GFX13: s_addk_co_i32 s0, 0x0                   ; encoding: [0x00,0x00,0x80,0xb7]

s_call_b64 s[0:1], 0
// GFX13: s_call_i64 s[0:1], 0                    ; encoding: [0x00,0x00,0x00,0xbb]
